;; amdgpu-corpus repo=ROCm/rocFFT kind=compiled arch=gfx906 opt=O3
	.text
	.amdgcn_target "amdgcn-amd-amdhsa--gfx906"
	.amdhsa_code_object_version 6
	.protected	fft_rtc_back_len208_factors_13_16_wgs_144_tpt_16_dp_op_CI_CI_sbcc ; -- Begin function fft_rtc_back_len208_factors_13_16_wgs_144_tpt_16_dp_op_CI_CI_sbcc
	.globl	fft_rtc_back_len208_factors_13_16_wgs_144_tpt_16_dp_op_CI_CI_sbcc
	.p2align	8
	.type	fft_rtc_back_len208_factors_13_16_wgs_144_tpt_16_dp_op_CI_CI_sbcc,@function
fft_rtc_back_len208_factors_13_16_wgs_144_tpt_16_dp_op_CI_CI_sbcc: ; @fft_rtc_back_len208_factors_13_16_wgs_144_tpt_16_dp_op_CI_CI_sbcc
; %bb.0:
	s_load_dwordx4 s[0:3], s[4:5], 0x18
	s_load_dwordx2 s[26:27], s[4:5], 0x28
	s_mov_b32 s7, 0
	s_mov_b64 s[20:21], 0
	s_waitcnt lgkmcnt(0)
	s_load_dwordx2 s[24:25], s[0:1], 0x8
	s_waitcnt lgkmcnt(0)
	s_add_u32 s8, s24, -1
	s_addc_u32 s9, s25, -1
	s_add_u32 s10, 0, 0x71c4fc00
	s_addc_u32 s11, 0, 0x7c
	s_mul_hi_u32 s13, s10, -9
	s_add_i32 s11, s11, 0x1c71c6a0
	s_sub_i32 s13, s13, s10
	s_mul_i32 s16, s11, -9
	s_mul_i32 s12, s10, -9
	s_add_i32 s13, s13, s16
	s_mul_hi_u32 s14, s11, s12
	s_mul_i32 s15, s11, s12
	s_mul_i32 s17, s10, s13
	s_mul_hi_u32 s12, s10, s12
	s_mul_hi_u32 s16, s10, s13
	s_add_u32 s12, s12, s17
	s_addc_u32 s16, 0, s16
	s_add_u32 s12, s12, s15
	s_mul_hi_u32 s17, s11, s13
	s_addc_u32 s12, s16, s14
	s_addc_u32 s14, s17, 0
	s_mul_i32 s13, s11, s13
	s_add_u32 s12, s12, s13
	v_mov_b32_e32 v1, s12
	s_addc_u32 s13, 0, s14
	v_add_co_u32_e32 v1, vcc, s10, v1
	s_cmp_lg_u64 vcc, 0
	s_addc_u32 s10, s11, s13
	v_readfirstlane_b32 s13, v1
	s_mul_i32 s12, s8, s10
	s_mul_hi_u32 s14, s8, s13
	s_mul_hi_u32 s11, s8, s10
	s_add_u32 s12, s14, s12
	s_addc_u32 s11, 0, s11
	s_mul_hi_u32 s15, s9, s13
	s_mul_i32 s13, s9, s13
	s_add_u32 s12, s12, s13
	s_mul_hi_u32 s14, s9, s10
	s_addc_u32 s11, s11, s15
	s_addc_u32 s12, s14, 0
	s_mul_i32 s10, s9, s10
	s_add_u32 s10, s11, s10
	s_addc_u32 s11, 0, s12
	s_add_u32 s12, s10, 1
	s_addc_u32 s13, s11, 0
	s_add_u32 s14, s10, 2
	s_mul_i32 s16, s11, 9
	s_mul_hi_u32 s17, s10, 9
	s_addc_u32 s15, s11, 0
	s_add_i32 s17, s17, s16
	s_mul_i32 s16, s10, 9
	v_mov_b32_e32 v1, s16
	v_sub_co_u32_e32 v1, vcc, s8, v1
	s_cmp_lg_u64 vcc, 0
	s_subb_u32 s8, s9, s17
	v_subrev_co_u32_e32 v2, vcc, 9, v1
	s_cmp_lg_u64 vcc, 0
	s_subb_u32 s9, s8, 0
	v_readfirstlane_b32 s16, v2
	s_cmp_gt_u32 s16, 8
	s_cselect_b32 s16, -1, 0
	s_cmp_eq_u32 s9, 0
	s_cselect_b32 s9, s16, -1
	s_cmp_lg_u32 s9, 0
	s_cselect_b32 s9, s14, s12
	s_cselect_b32 s12, s15, s13
	v_readfirstlane_b32 s13, v1
	s_cmp_gt_u32 s13, 8
	s_cselect_b32 s13, -1, 0
	s_cmp_eq_u32 s8, 0
	s_cselect_b32 s8, s13, -1
	s_cmp_lg_u32 s8, 0
	s_cselect_b32 s9, s9, s10
	s_cselect_b32 s8, s12, s11
	s_add_u32 s30, s9, 1
	s_addc_u32 s31, s8, 0
	v_mov_b32_e32 v1, s30
	v_mov_b32_e32 v2, s31
	v_cmp_lt_u64_e32 vcc, s[6:7], v[1:2]
	s_cbranch_vccnz .LBB0_2
; %bb.1:
	v_cvt_f32_u32_e32 v1, s30
	s_sub_i32 s8, 0, s30
	s_mov_b32 s21, s7
	v_rcp_iflag_f32_e32 v1, v1
	v_mul_f32_e32 v1, 0x4f7ffffe, v1
	v_cvt_u32_f32_e32 v1, v1
	v_readfirstlane_b32 s9, v1
	s_mul_i32 s8, s8, s9
	s_mul_hi_u32 s8, s9, s8
	s_add_i32 s9, s9, s8
	s_mul_hi_u32 s8, s6, s9
	s_mul_i32 s10, s8, s30
	s_sub_i32 s10, s6, s10
	s_add_i32 s9, s8, 1
	s_sub_i32 s11, s10, s30
	s_cmp_ge_u32 s10, s30
	s_cselect_b32 s8, s9, s8
	s_cselect_b32 s10, s11, s10
	s_add_i32 s9, s8, 1
	s_cmp_ge_u32 s10, s30
	s_cselect_b32 s20, s9, s8
.LBB0_2:
	s_load_dwordx4 s[12:15], s[4:5], 0x60
	s_load_dwordx4 s[16:19], s[2:3], 0x0
	;; [unrolled: 1-line block ×3, first 2 shown]
	s_load_dwordx2 s[22:23], s[4:5], 0x0
	s_load_dwordx2 s[34:35], s[4:5], 0x10
	s_mul_i32 s4, s20, s31
	s_mul_hi_u32 s5, s20, s30
	s_add_i32 s5, s5, s4
	s_mul_i32 s4, s20, s30
	s_sub_u32 s50, s6, s4
	s_subb_u32 s4, 0, s5
	s_mul_i32 s4, s4, 9
	s_mul_hi_u32 s33, s50, 9
	s_add_i32 s33, s33, s4
	s_mul_i32 s50, s50, 9
	s_waitcnt lgkmcnt(0)
	s_mul_i32 s4, s18, s33
	s_mul_hi_u32 s5, s18, s50
	s_add_i32 s4, s5, s4
	s_mul_i32 s5, s19, s50
	s_add_i32 s29, s4, s5
	s_mul_i32 s4, s10, s33
	s_mul_hi_u32 s5, s10, s50
	v_cmp_lt_u64_e64 s[36:37], s[34:35], 3
	s_add_i32 s4, s5, s4
	s_mul_i32 s5, s11, s50
	s_mul_i32 s28, s18, s50
	s_add_i32 s5, s4, s5
	s_mul_i32 s4, s10, s50
	s_and_b64 vcc, exec, s[36:37]
	s_cbranch_vccnz .LBB0_12
; %bb.3:
	s_add_u32 s36, s26, 16
	s_addc_u32 s37, s27, 0
	s_add_u32 s38, s2, 16
	s_addc_u32 s39, s3, 0
	s_add_u32 s40, s0, 16
	v_mov_b32_e32 v1, s34
	s_addc_u32 s41, s1, 0
	s_mov_b64 s[42:43], 2
	s_mov_b32 s44, 0
	v_mov_b32_e32 v2, s35
.LBB0_4:                                ; =>This Inner Loop Header: Depth=1
	s_load_dwordx2 s[46:47], s[40:41], 0x0
	s_waitcnt lgkmcnt(0)
	s_or_b64 s[0:1], s[20:21], s[46:47]
	s_mov_b32 s45, s1
	s_cmp_lg_u64 s[44:45], 0
	s_cbranch_scc0 .LBB0_9
; %bb.5:                                ;   in Loop: Header=BB0_4 Depth=1
	v_cvt_f32_u32_e32 v3, s46
	v_cvt_f32_u32_e32 v4, s47
	s_sub_u32 s0, 0, s46
	s_subb_u32 s1, 0, s47
	v_mac_f32_e32 v3, 0x4f800000, v4
	v_rcp_f32_e32 v3, v3
	v_mul_f32_e32 v3, 0x5f7ffffc, v3
	v_mul_f32_e32 v4, 0x2f800000, v3
	v_trunc_f32_e32 v4, v4
	v_mac_f32_e32 v3, 0xcf800000, v4
	v_cvt_u32_f32_e32 v4, v4
	v_cvt_u32_f32_e32 v3, v3
	v_readfirstlane_b32 s45, v4
	v_readfirstlane_b32 s48, v3
	s_mul_i32 s49, s0, s45
	s_mul_hi_u32 s52, s0, s48
	s_mul_i32 s51, s1, s48
	s_add_i32 s49, s52, s49
	s_mul_i32 s53, s0, s48
	s_add_i32 s49, s49, s51
	s_mul_hi_u32 s51, s48, s49
	s_mul_i32 s52, s48, s49
	s_mul_hi_u32 s48, s48, s53
	s_add_u32 s48, s48, s52
	s_addc_u32 s51, 0, s51
	s_mul_hi_u32 s54, s45, s53
	s_mul_i32 s53, s45, s53
	s_add_u32 s48, s48, s53
	s_mul_hi_u32 s52, s45, s49
	s_addc_u32 s48, s51, s54
	s_addc_u32 s51, s52, 0
	s_mul_i32 s49, s45, s49
	s_add_u32 s48, s48, s49
	s_addc_u32 s49, 0, s51
	v_add_co_u32_e32 v3, vcc, s48, v3
	s_cmp_lg_u64 vcc, 0
	s_addc_u32 s45, s45, s49
	v_readfirstlane_b32 s49, v3
	s_mul_i32 s48, s0, s45
	s_mul_hi_u32 s51, s0, s49
	s_add_i32 s48, s51, s48
	s_mul_i32 s1, s1, s49
	s_add_i32 s48, s48, s1
	s_mul_i32 s0, s0, s49
	s_mul_hi_u32 s51, s45, s0
	s_mul_i32 s52, s45, s0
	s_mul_i32 s54, s49, s48
	s_mul_hi_u32 s0, s49, s0
	s_mul_hi_u32 s53, s49, s48
	s_add_u32 s0, s0, s54
	s_addc_u32 s49, 0, s53
	s_add_u32 s0, s0, s52
	s_mul_hi_u32 s1, s45, s48
	s_addc_u32 s0, s49, s51
	s_addc_u32 s1, s1, 0
	s_mul_i32 s48, s45, s48
	s_add_u32 s0, s0, s48
	s_addc_u32 s1, 0, s1
	v_add_co_u32_e32 v3, vcc, s0, v3
	s_cmp_lg_u64 vcc, 0
	s_addc_u32 s0, s45, s1
	v_readfirstlane_b32 s48, v3
	s_mul_i32 s45, s20, s0
	s_mul_hi_u32 s49, s20, s48
	s_mul_hi_u32 s1, s20, s0
	s_add_u32 s45, s49, s45
	s_addc_u32 s1, 0, s1
	s_mul_hi_u32 s51, s21, s48
	s_mul_i32 s48, s21, s48
	s_add_u32 s45, s45, s48
	s_mul_hi_u32 s49, s21, s0
	s_addc_u32 s1, s1, s51
	s_addc_u32 s45, s49, 0
	s_mul_i32 s0, s21, s0
	s_add_u32 s48, s1, s0
	s_addc_u32 s45, 0, s45
	s_mul_i32 s0, s46, s45
	s_mul_hi_u32 s1, s46, s48
	s_add_i32 s0, s1, s0
	s_mul_i32 s1, s47, s48
	s_add_i32 s49, s0, s1
	s_mul_i32 s1, s46, s48
	v_mov_b32_e32 v3, s1
	s_sub_i32 s0, s21, s49
	v_sub_co_u32_e32 v3, vcc, s20, v3
	s_cmp_lg_u64 vcc, 0
	s_subb_u32 s51, s0, s47
	v_subrev_co_u32_e64 v4, s[0:1], s46, v3
	s_cmp_lg_u64 s[0:1], 0
	s_subb_u32 s0, s51, 0
	s_cmp_ge_u32 s0, s47
	v_readfirstlane_b32 s51, v4
	s_cselect_b32 s1, -1, 0
	s_cmp_ge_u32 s51, s46
	s_cselect_b32 s51, -1, 0
	s_cmp_eq_u32 s0, s47
	s_cselect_b32 s0, s51, s1
	s_add_u32 s1, s48, 1
	s_addc_u32 s51, s45, 0
	s_add_u32 s52, s48, 2
	s_addc_u32 s53, s45, 0
	s_cmp_lg_u32 s0, 0
	s_cselect_b32 s0, s52, s1
	s_cselect_b32 s1, s53, s51
	s_cmp_lg_u64 vcc, 0
	s_subb_u32 s49, s21, s49
	s_cmp_ge_u32 s49, s47
	v_readfirstlane_b32 s52, v3
	s_cselect_b32 s51, -1, 0
	s_cmp_ge_u32 s52, s46
	s_cselect_b32 s52, -1, 0
	s_cmp_eq_u32 s49, s47
	s_cselect_b32 s49, s52, s51
	s_cmp_lg_u32 s49, 0
	s_cselect_b32 s1, s1, s45
	s_cselect_b32 s0, s0, s48
	s_cbranch_execnz .LBB0_7
.LBB0_6:                                ;   in Loop: Header=BB0_4 Depth=1
	v_cvt_f32_u32_e32 v3, s46
	s_sub_i32 s0, 0, s46
	v_rcp_iflag_f32_e32 v3, v3
	v_mul_f32_e32 v3, 0x4f7ffffe, v3
	v_cvt_u32_f32_e32 v3, v3
	v_readfirstlane_b32 s1, v3
	s_mul_i32 s0, s0, s1
	s_mul_hi_u32 s0, s1, s0
	s_add_i32 s1, s1, s0
	s_mul_hi_u32 s0, s20, s1
	s_mul_i32 s45, s0, s46
	s_sub_i32 s45, s20, s45
	s_add_i32 s1, s0, 1
	s_sub_i32 s48, s45, s46
	s_cmp_ge_u32 s45, s46
	s_cselect_b32 s0, s1, s0
	s_cselect_b32 s45, s48, s45
	s_add_i32 s1, s0, 1
	s_cmp_ge_u32 s45, s46
	s_cselect_b32 s0, s1, s0
	s_mov_b32 s1, s44
.LBB0_7:                                ;   in Loop: Header=BB0_4 Depth=1
	s_mul_i32 s31, s46, s31
	s_mul_hi_u32 s45, s46, s30
	s_add_i32 s31, s45, s31
	s_mul_i32 s45, s47, s30
	s_add_i32 s31, s31, s45
	s_mul_i32 s45, s0, s47
	s_mul_hi_u32 s47, s0, s46
	s_load_dwordx2 s[48:49], s[38:39], 0x0
	s_add_i32 s45, s47, s45
	s_mul_i32 s47, s1, s46
	s_mul_i32 s30, s46, s30
	s_add_i32 s45, s45, s47
	s_mul_i32 s46, s0, s46
	s_sub_u32 s46, s20, s46
	s_subb_u32 s45, s21, s45
	s_waitcnt lgkmcnt(0)
	s_mul_i32 s20, s48, s45
	s_mul_hi_u32 s21, s48, s46
	s_add_i32 s47, s21, s20
	s_load_dwordx2 s[20:21], s[36:37], 0x0
	s_mul_i32 s49, s49, s46
	s_add_i32 s47, s47, s49
	s_mul_i32 s48, s48, s46
	s_add_u32 s28, s48, s28
	s_addc_u32 s29, s47, s29
	s_waitcnt lgkmcnt(0)
	s_mul_i32 s45, s20, s45
	s_mul_hi_u32 s47, s20, s46
	s_add_i32 s45, s47, s45
	s_mul_i32 s21, s21, s46
	s_add_i32 s45, s45, s21
	s_mul_i32 s20, s20, s46
	s_add_u32 s4, s20, s4
	s_addc_u32 s5, s45, s5
	s_add_u32 s42, s42, 1
	s_addc_u32 s43, s43, 0
	;; [unrolled: 2-line block ×4, first 2 shown]
	v_cmp_ge_u64_e32 vcc, s[42:43], v[1:2]
	s_add_u32 s40, s40, 8
	s_addc_u32 s41, s41, 0
	s_cbranch_vccnz .LBB0_10
; %bb.8:                                ;   in Loop: Header=BB0_4 Depth=1
	s_mov_b64 s[20:21], s[0:1]
	s_branch .LBB0_4
.LBB0_9:                                ;   in Loop: Header=BB0_4 Depth=1
                                        ; implicit-def: $sgpr0_sgpr1
	s_branch .LBB0_6
.LBB0_10:
	v_mov_b32_e32 v1, s30
	v_mov_b32_e32 v2, s31
	v_cmp_lt_u64_e32 vcc, s[6:7], v[1:2]
	s_mov_b64 s[20:21], 0
	s_cbranch_vccnz .LBB0_12
; %bb.11:
	v_cvt_f32_u32_e32 v1, s30
	s_sub_i32 s0, 0, s30
	v_rcp_iflag_f32_e32 v1, v1
	v_mul_f32_e32 v1, 0x4f7ffffe, v1
	v_cvt_u32_f32_e32 v1, v1
	v_readfirstlane_b32 s1, v1
	s_mul_i32 s0, s0, s1
	s_mul_hi_u32 s0, s1, s0
	s_add_i32 s1, s1, s0
	s_mul_hi_u32 s0, s6, s1
	s_mul_i32 s7, s0, s30
	s_sub_i32 s6, s6, s7
	s_add_i32 s1, s0, 1
	s_sub_i32 s7, s6, s30
	s_cmp_ge_u32 s6, s30
	s_cselect_b32 s0, s1, s0
	s_cselect_b32 s6, s7, s6
	s_add_i32 s1, s0, 1
	s_cmp_ge_u32 s6, s30
	s_cselect_b32 s20, s1, s0
.LBB0_12:
	s_lshl_b64 s[30:31], s[34:35], 3
	s_add_u32 s6, s26, s30
	s_addc_u32 s7, s27, s31
	s_add_u32 s0, s50, 9
	v_mov_b32_e32 v1, s24
	s_addc_u32 s1, s33, 0
	v_mov_b32_e32 v2, s25
	v_cmp_le_u64_e32 vcc, s[0:1], v[1:2]
	v_mul_u32_u24_e32 v1, 0x1c72, v0
	v_lshrrev_b32_e32 v92, 16, v1
	v_mul_lo_u16_e32 v1, 9, v92
	v_sub_u16_e32 v97, v0, v1
	v_mov_b32_e32 v2, s33
	v_add_co_u32_e64 v1, s[0:1], s50, v97
	v_addc_co_u32_e64 v2, s[0:1], 0, v2, s[0:1]
	v_cmp_gt_u64_e64 s[0:1], s[24:25], v[1:2]
	v_lshlrev_b32_e32 v98, 4, v92
	s_or_b64 s[0:1], vcc, s[0:1]
	v_add_u32_e32 v96, 16, v92
	v_or_b32_e32 v95, 32, v92
	v_add_u32_e32 v94, 48, v92
	v_or_b32_e32 v93, 64, v92
	s_and_saveexec_b64 s[24:25], s[0:1]
	s_cbranch_execz .LBB0_14
; %bb.13:
	s_add_u32 s2, s2, s30
	s_addc_u32 s3, s3, s31
	s_load_dwordx2 s[2:3], s[2:3], 0x0
	v_mad_u64_u32 v[1:2], s[26:27], s18, v97, 0
	v_mad_u64_u32 v[3:4], s[26:27], s16, v92, 0
	s_waitcnt lgkmcnt(0)
	s_mul_i32 s3, s3, s20
	s_mul_hi_u32 s21, s2, s20
	s_add_i32 s3, s21, s3
	s_mul_i32 s2, s2, s20
	v_mad_u64_u32 v[5:6], s[18:19], s19, v97, v[2:3]
	v_mov_b32_e32 v2, v4
	s_lshl_b64 s[2:3], s[2:3], 4
	v_mad_u64_u32 v[6:7], s[18:19], s17, v92, v[2:3]
	s_add_u32 s12, s12, s2
	s_addc_u32 s13, s13, s3
	s_lshl_b64 s[2:3], s[28:29], 4
	s_add_u32 s12, s12, s2
	s_addc_u32 s2, s13, s3
	v_mov_b32_e32 v2, v5
	v_mov_b32_e32 v4, v6
	v_mov_b32_e32 v7, s2
	v_mad_u64_u32 v[5:6], s[2:3], s16, v96, 0
	v_lshlrev_b64 v[1:2], 4, v[1:2]
	v_mad_u64_u32 v[11:12], s[2:3], s16, v95, 0
	v_add_co_u32_e32 v56, vcc, s12, v1
	v_addc_co_u32_e32 v57, vcc, v7, v2, vcc
	v_lshlrev_b64 v[1:2], 4, v[3:4]
	v_mov_b32_e32 v3, v6
	v_mad_u64_u32 v[3:4], s[2:3], s17, v96, v[3:4]
	v_add_co_u32_e32 v9, vcc, v56, v1
	v_mov_b32_e32 v6, v3
	v_addc_co_u32_e32 v10, vcc, v57, v2, vcc
	v_lshlrev_b64 v[1:2], 4, v[5:6]
	v_mad_u64_u32 v[15:16], s[2:3], s16, v94, 0
	v_add_co_u32_e32 v13, vcc, v56, v1
	v_mov_b32_e32 v1, v12
	v_mad_u64_u32 v[17:18], s[2:3], s17, v95, v[1:2]
	v_mov_b32_e32 v1, v16
	v_mad_u64_u32 v[18:19], s[2:3], s17, v94, v[1:2]
	v_mov_b32_e32 v12, v17
	v_addc_co_u32_e32 v14, vcc, v57, v2, vcc
	global_load_dwordx4 v[1:4], v[9:10], off
	global_load_dwordx4 v[5:8], v[13:14], off
	v_lshlrev_b64 v[9:10], 4, v[11:12]
	v_mad_u64_u32 v[21:22], s[2:3], s16, v93, 0
	v_add_co_u32_e32 v17, vcc, v56, v9
	v_mov_b32_e32 v16, v18
	v_addc_co_u32_e32 v18, vcc, v57, v10, vcc
	v_add_u32_e32 v10, 0x50, v92
	v_mad_u64_u32 v[23:24], s[2:3], s16, v10, 0
	v_mov_b32_e32 v9, v22
	v_mad_u64_u32 v[25:26], s[2:3], s17, v93, v[9:10]
	v_lshlrev_b64 v[11:12], 4, v[15:16]
	v_mov_b32_e32 v9, v24
	v_mad_u64_u32 v[26:27], s[2:3], s17, v10, v[9:10]
	v_add_co_u32_e32 v19, vcc, v56, v11
	v_mov_b32_e32 v22, v25
	v_addc_co_u32_e32 v20, vcc, v57, v12, vcc
	global_load_dwordx4 v[9:12], v[17:18], off
	global_load_dwordx4 v[13:16], v[19:20], off
	v_lshlrev_b64 v[17:18], 4, v[21:22]
	v_or_b32_e32 v19, 0x60, v92
	v_mad_u64_u32 v[27:28], s[2:3], s16, v19, 0
	v_mov_b32_e32 v24, v26
	v_add_co_u32_e32 v25, vcc, v56, v17
	v_addc_co_u32_e32 v26, vcc, v57, v18, vcc
	v_lshlrev_b64 v[17:18], 4, v[23:24]
	v_add_u32_e32 v34, 0x70, v92
	v_add_co_u32_e32 v29, vcc, v56, v17
	v_mov_b32_e32 v17, v28
	v_mad_u64_u32 v[31:32], s[2:3], s17, v19, v[17:18]
	v_mad_u64_u32 v[32:33], s[2:3], s16, v34, 0
	v_mov_b32_e32 v28, v31
	v_addc_co_u32_e32 v30, vcc, v57, v18, vcc
	global_load_dwordx4 v[17:20], v[25:26], off
	global_load_dwordx4 v[21:24], v[29:30], off
	v_lshlrev_b64 v[25:26], 4, v[27:28]
	v_mov_b32_e32 v27, v33
	v_mad_u64_u32 v[27:28], s[2:3], s17, v34, v[27:28]
	v_add_co_u32_e32 v34, vcc, v56, v25
	v_mov_b32_e32 v33, v27
	v_or_b32_e32 v27, 0x80, v92
	v_mad_u64_u32 v[36:37], s[2:3], s16, v27, 0
	v_addc_co_u32_e32 v35, vcc, v57, v26, vcc
	v_lshlrev_b64 v[25:26], 4, v[32:33]
	v_add_u32_e32 v43, 0x90, v92
	v_add_co_u32_e32 v38, vcc, v56, v25
	v_mov_b32_e32 v25, v37
	v_mad_u64_u32 v[40:41], s[2:3], s17, v27, v[25:26]
	v_mad_u64_u32 v[41:42], s[2:3], s16, v43, 0
	v_addc_co_u32_e32 v39, vcc, v57, v26, vcc
	global_load_dwordx4 v[25:28], v[34:35], off
	global_load_dwordx4 v[29:32], v[38:39], off
	v_mov_b32_e32 v37, v40
	v_mov_b32_e32 v35, v42
	v_lshlrev_b64 v[33:34], 4, v[36:37]
	v_mad_u64_u32 v[35:36], s[2:3], s17, v43, v[35:36]
	v_add_co_u32_e32 v43, vcc, v56, v33
	v_mov_b32_e32 v42, v35
	v_or_b32_e32 v35, 0xa0, v92
	v_addc_co_u32_e32 v44, vcc, v57, v34, vcc
	v_lshlrev_b64 v[33:34], 4, v[41:42]
	v_mad_u64_u32 v[41:42], s[2:3], s16, v35, 0
	v_add_co_u32_e32 v45, vcc, v56, v33
	v_mov_b32_e32 v33, v42
	v_mad_u64_u32 v[47:48], s[2:3], s17, v35, v[33:34]
	v_add_u32_e32 v50, 0xb0, v92
	v_mad_u64_u32 v[48:49], s[2:3], s16, v50, 0
	v_addc_co_u32_e32 v46, vcc, v57, v34, vcc
	global_load_dwordx4 v[33:36], v[43:44], off
	global_load_dwordx4 v[37:40], v[45:46], off
	v_mov_b32_e32 v43, v49
	v_mad_u64_u32 v[43:44], s[2:3], s17, v50, v[43:44]
	v_or_b32_e32 v46, 0xc0, v92
	v_mad_u64_u32 v[44:45], s[2:3], s16, v46, 0
	v_mov_b32_e32 v42, v47
	v_lshlrev_b64 v[41:42], 4, v[41:42]
	v_mov_b32_e32 v49, v43
	v_mov_b32_e32 v43, v45
	v_add_co_u32_e32 v50, vcc, v56, v41
	v_mad_u64_u32 v[45:46], s[2:3], s17, v46, v[43:44]
	v_addc_co_u32_e32 v51, vcc, v57, v42, vcc
	v_lshlrev_b64 v[41:42], 4, v[48:49]
	v_lshlrev_b64 v[54:55], 4, v[44:45]
	v_add_co_u32_e32 v52, vcc, v56, v41
	v_addc_co_u32_e32 v53, vcc, v57, v42, vcc
	global_load_dwordx4 v[41:44], v[50:51], off
	global_load_dwordx4 v[45:48], v[52:53], off
	v_add_co_u32_e32 v49, vcc, v56, v54
	v_addc_co_u32_e32 v50, vcc, v57, v55, vcc
	global_load_dwordx4 v[49:52], v[49:50], off
	v_mul_u32_u24_e32 v53, 0xd00, v97
	v_add3_u32 v53, 0, v53, v98
	s_waitcnt vmcnt(12)
	ds_write_b128 v53, v[1:4]
	s_waitcnt vmcnt(11)
	ds_write_b128 v53, v[5:8] offset:256
	s_waitcnt vmcnt(10)
	ds_write_b128 v53, v[9:12] offset:512
	;; [unrolled: 2-line block ×12, first 2 shown]
.LBB0_14:
	s_or_b64 exec, exec, s[24:25]
	s_add_u32 s2, 0, 0x71c4fc00
	s_addc_u32 s3, 0, 0x7c
	s_add_i32 s3, s3, 0x1c71c6a0
	s_mul_hi_u32 s17, s2, -9
	s_sub_i32 s17, s17, s2
	s_mul_i32 s18, s3, -9
	s_mul_i32 s12, s2, -9
	s_add_i32 s17, s17, s18
	s_mul_hi_u32 s13, s3, s12
	s_mul_i32 s16, s3, s12
	s_mul_i32 s19, s2, s17
	s_mul_hi_u32 s12, s2, s12
	s_mul_hi_u32 s18, s2, s17
	s_add_u32 s12, s12, s19
	s_addc_u32 s18, 0, s18
	s_add_u32 s12, s12, s16
	s_mul_hi_u32 s19, s3, s17
	s_addc_u32 s12, s18, s13
	v_lshrrev_b32_e32 v1, 4, v0
	s_addc_u32 s13, s19, 0
	s_mul_i32 s16, s3, s17
	v_mov_b32_e32 v2, s33
	v_add_co_u32_e32 v5, vcc, s50, v1
	s_add_u32 s12, s12, s16
	v_addc_co_u32_e32 v6, vcc, 0, v2, vcc
	v_mov_b32_e32 v1, s12
	s_addc_u32 s13, 0, s13
	v_add_co_u32_e32 v3, vcc, s2, v1
	s_cmp_lg_u64 vcc, 0
	s_addc_u32 s12, s3, s13
	v_mad_u64_u32 v[1:2], s[2:3], v5, s12, 0
	v_mul_hi_u32 v4, v5, v3
	v_and_b32_e32 v101, 15, v0
	s_mov_b32 s42, 0x4267c47c
	s_mov_b32 s40, 0x42a4c3d2
	v_add_co_u32_e32 v7, vcc, v4, v1
	v_addc_co_u32_e32 v8, vcc, 0, v2, vcc
	v_mad_u64_u32 v[1:2], s[2:3], v6, v3, 0
	v_mad_u64_u32 v[3:4], s[2:3], v6, s12, 0
	v_add_co_u32_e32 v1, vcc, v7, v1
	v_addc_co_u32_e32 v1, vcc, v8, v2, vcc
	v_addc_co_u32_e32 v2, vcc, 0, v4, vcc
	v_add_co_u32_e32 v1, vcc, v1, v3
	v_addc_co_u32_e32 v3, vcc, 0, v2, vcc
	v_mad_u64_u32 v[1:2], s[2:3], v1, 9, 0
	s_load_dwordx2 s[2:3], s[6:7], 0x0
	s_waitcnt lgkmcnt(0)
	v_mad_u64_u32 v[2:3], s[6:7], v3, 9, v[2:3]
	v_sub_co_u32_e32 v1, vcc, v5, v1
	v_subb_co_u32_e32 v2, vcc, v6, v2, vcc
	v_subrev_co_u32_e32 v3, vcc, 9, v1
	v_subbrev_co_u32_e32 v4, vcc, 0, v2, vcc
	v_cmp_lt_u32_e32 vcc, 8, v3
	v_cndmask_b32_e64 v5, 0, -1, vcc
	v_cmp_eq_u32_e32 vcc, 0, v4
	v_cndmask_b32_e32 v4, -1, v5, vcc
	v_add_u32_e32 v5, -9, v3
	v_cmp_ne_u32_e32 vcc, 0, v4
	v_cndmask_b32_e32 v3, v3, v5, vcc
	v_cmp_lt_u32_e32 vcc, 8, v1
	v_cndmask_b32_e64 v4, 0, -1, vcc
	v_cmp_eq_u32_e32 vcc, 0, v2
	v_cndmask_b32_e32 v2, -1, v4, vcc
	v_cmp_ne_u32_e32 vcc, 0, v2
	v_cndmask_b32_e32 v1, v1, v3, vcc
	v_mul_u32_u24_e32 v1, 0xd0, v1
	v_lshlrev_b32_e32 v0, 4, v1
	v_add_u32_e32 v102, 0, v0
	v_lshlrev_b32_e32 v1, 4, v101
	v_add_u32_e32 v100, v102, v1
	s_barrier
	v_add3_u32 v99, 0, v1, v0
	ds_read_b128 v[4:7], v100
	ds_read_b128 v[0:3], v99 offset:256
	ds_read_b128 v[8:11], v99 offset:512
	;; [unrolled: 1-line block ×3, first 2 shown]
	s_mov_b32 s36, 0x66966769
	s_mov_b32 s16, 0x2ef20147
	;; [unrolled: 1-line block ×3, first 2 shown]
	s_waitcnt lgkmcnt(2)
	v_add_f64 v[16:17], v[4:5], v[0:1]
	s_mov_b32 s50, 0x4bc48dbf
	s_mov_b32 s43, 0xbfddbe06
	;; [unrolled: 1-line block ×7, first 2 shown]
	s_waitcnt lgkmcnt(1)
	v_add_f64 v[20:21], v[16:17], v[8:9]
	v_add_f64 v[16:17], v[6:7], v[2:3]
	s_mov_b32 s18, 0xe00740e9
	s_mov_b32 s12, 0x1ea71119
	;; [unrolled: 1-line block ×6, first 2 shown]
	s_waitcnt lgkmcnt(0)
	v_add_f64 v[24:25], v[20:21], v[12:13]
	v_add_f64 v[22:23], v[16:17], v[10:11]
	ds_read_b128 v[16:19], v99 offset:2816
	s_mov_b32 s19, 0x3fec55a7
	s_mov_b32 s13, 0x3fe22d96
	;; [unrolled: 1-line block ×4, first 2 shown]
	s_waitcnt lgkmcnt(0)
	v_add_f64 v[44:45], v[8:9], v[16:17]
	v_add_f64 v[48:49], v[10:11], v[18:19]
	;; [unrolled: 1-line block ×3, first 2 shown]
	v_add_f64 v[46:47], v[8:9], -v[16:17]
	v_add_f64 v[50:51], v[10:11], -v[18:19]
	ds_read_b128 v[8:11], v99 offset:1024
	ds_read_b128 v[20:23], v99 offset:1280
	s_mov_b32 s31, 0xbfe7f3cc
	s_mov_b32 s47, 0xbfef11f4
	;; [unrolled: 1-line block ×3, first 2 shown]
	s_waitcnt lgkmcnt(1)
	v_add_f64 v[24:25], v[24:25], v[8:9]
	v_add_f64 v[26:27], v[26:27], v[10:11]
	s_mov_b32 s38, s42
	s_mov_b32 s35, 0x3fea55e2
	;; [unrolled: 1-line block ×6, first 2 shown]
	s_waitcnt lgkmcnt(0)
	v_add_f64 v[32:33], v[24:25], v[20:21]
	v_add_f64 v[34:35], v[26:27], v[22:23]
	ds_read_b128 v[24:27], v99 offset:1536
	ds_read_b128 v[28:31], v99 offset:1792
	s_mov_b32 s48, s26
	s_mov_b32 s29, 0x3fefc445
	;; [unrolled: 1-line block ×4, first 2 shown]
	s_waitcnt lgkmcnt(0)
	v_add_f64 v[74:75], v[24:25], v[28:29]
	v_add_f64 v[32:33], v[32:33], v[24:25]
	v_add_f64 v[34:35], v[34:35], v[26:27]
	v_add_f64 v[72:73], v[24:25], -v[28:29]
	v_add_f64 v[80:81], v[26:27], v[30:31]
	v_add_f64 v[82:83], v[26:27], -v[30:31]
	s_mov_b32 s52, s50
	v_cmp_gt_u32_e32 vcc, 13, v101
	v_add_f64 v[40:41], v[32:33], v[28:29]
	v_add_f64 v[42:43], v[34:35], v[30:31]
	ds_read_b128 v[32:35], v99 offset:2048
	ds_read_b128 v[36:39], v99 offset:2304
	s_waitcnt lgkmcnt(1)
	v_add_f64 v[64:65], v[20:21], v[32:33]
	s_waitcnt lgkmcnt(0)
	v_add_f64 v[56:57], v[8:9], v[36:37]
	v_add_f64 v[40:41], v[40:41], v[32:33]
	;; [unrolled: 1-line block ×3, first 2 shown]
	v_add_f64 v[58:59], v[8:9], -v[36:37]
	v_add_f64 v[76:77], v[22:23], v[34:35]
	v_add_f64 v[66:67], v[20:21], -v[32:33]
	v_add_f64 v[78:79], v[22:23], -v[34:35]
	v_add_f64 v[68:69], v[10:11], v[38:39]
	v_add_f64 v[70:71], v[10:11], -v[38:39]
	v_add_f64 v[52:53], v[40:41], v[36:37]
	v_add_f64 v[54:55], v[42:43], v[38:39]
	ds_read_b128 v[40:43], v99 offset:2560
	s_waitcnt lgkmcnt(0)
	v_add_f64 v[60:61], v[14:15], v[42:43]
	v_add_f64 v[52:53], v[52:53], v[40:41]
	;; [unrolled: 1-line block ×3, first 2 shown]
	v_add_f64 v[62:63], v[14:15], -v[42:43]
	v_add_f64 v[52:53], v[52:53], v[16:17]
	v_add_f64 v[54:55], v[54:55], v[18:19]
	ds_read_b128 v[16:19], v99 offset:3072
	s_waitcnt lgkmcnt(0)
	s_barrier
	v_add_f64 v[90:91], v[2:3], -v[18:19]
	v_add_f64 v[84:85], v[0:1], v[16:17]
	v_add_f64 v[86:87], v[2:3], v[18:19]
	v_add_f64 v[88:89], v[0:1], -v[16:17]
	v_add_f64 v[0:1], v[52:53], v[16:17]
	v_add_f64 v[2:3], v[54:55], v[18:19]
	;; [unrolled: 1-line block ×3, first 2 shown]
	v_add_f64 v[54:55], v[12:13], -v[40:41]
	v_mul_f64 v[8:9], v[90:91], s[42:43]
	v_mul_f64 v[12:13], v[90:91], s[40:41]
	;; [unrolled: 1-line block ×8, first 2 shown]
	v_fma_f64 v[10:11], v[84:85], s[18:19], v[8:9]
	v_fma_f64 v[8:9], v[84:85], s[18:19], -v[8:9]
	v_fma_f64 v[14:15], v[84:85], s[12:13], v[12:13]
	v_fma_f64 v[12:13], v[84:85], s[12:13], -v[12:13]
	;; [unrolled: 2-line block ×6, first 2 shown]
	v_mul_f64 v[84:85], v[86:87], s[24:25]
	v_mul_f64 v[90:91], v[86:87], s[30:31]
	v_fma_f64 v[34:35], v[88:89], s[38:39], v[32:33]
	v_fma_f64 v[38:39], v[88:89], s[34:35], v[36:37]
	;; [unrolled: 1-line block ×3, first 2 shown]
	v_add_f64 v[117:118], v[4:5], v[16:17]
	v_mul_f64 v[16:17], v[50:51], s[40:41]
	v_mul_f64 v[40:41], v[86:87], s[6:7]
	v_fma_f64 v[103:104], v[88:89], s[44:45], v[84:85]
	v_fma_f64 v[84:85], v[88:89], s[16:17], v[84:85]
	;; [unrolled: 1-line block ×4, first 2 shown]
	v_mul_f64 v[86:87], v[86:87], s[46:47]
	v_add_f64 v[10:11], v[4:5], v[10:11]
	v_add_f64 v[109:110], v[6:7], v[34:35]
	;; [unrolled: 1-line block ×16, first 2 shown]
	v_fma_f64 v[4:5], v[44:45], s[12:13], v[16:17]
	v_mul_f64 v[20:21], v[62:63], s[36:37]
	v_fma_f64 v[32:33], v[88:89], s[42:43], v[32:33]
	v_fma_f64 v[42:43], v[88:89], s[28:29], v[40:41]
	;; [unrolled: 1-line block ×5, first 2 shown]
	v_add_f64 v[103:104], v[6:7], v[103:104]
	v_add_f64 v[4:5], v[4:5], v[10:11]
	v_mul_f64 v[10:11], v[48:49], s[12:13]
	v_fma_f64 v[22:23], v[52:53], s[6:7], v[20:21]
	v_add_f64 v[111:112], v[6:7], v[32:33]
	v_add_f64 v[42:43], v[6:7], v[42:43]
	;; [unrolled: 1-line block ×6, first 2 shown]
	v_fma_f64 v[6:7], v[46:47], s[34:35], v[10:11]
	v_add_f64 v[4:5], v[22:23], v[4:5]
	v_mul_f64 v[22:23], v[60:61], s[6:7]
	v_fma_f64 v[16:17], v[44:45], s[12:13], -v[16:17]
	v_fma_f64 v[10:11], v[46:47], s[40:41], v[10:11]
	v_add_f64 v[6:7], v[6:7], v[109:110]
	v_fma_f64 v[24:25], v[54:55], s[28:29], v[22:23]
	v_add_f64 v[8:9], v[16:17], v[8:9]
	v_fma_f64 v[16:17], v[52:53], s[6:7], -v[20:21]
	v_add_f64 v[10:11], v[10:11], v[111:112]
	v_mul_f64 v[111:112], v[76:77], s[6:7]
	v_add_f64 v[6:7], v[24:25], v[6:7]
	v_mul_f64 v[24:25], v[70:71], s[16:17]
	v_add_f64 v[8:9], v[16:17], v[8:9]
	v_fma_f64 v[16:17], v[54:55], s[36:37], v[22:23]
	v_fma_f64 v[28:29], v[56:57], s[24:25], v[24:25]
	v_add_f64 v[10:11], v[16:17], v[10:11]
	v_fma_f64 v[16:17], v[56:57], s[24:25], -v[24:25]
	v_mul_f64 v[24:25], v[48:49], s[24:25]
	v_add_f64 v[4:5], v[28:29], v[4:5]
	v_mul_f64 v[28:29], v[68:69], s[24:25]
	v_add_f64 v[8:9], v[16:17], v[8:9]
	v_fma_f64 v[30:31], v[58:59], s[44:45], v[28:29]
	v_fma_f64 v[16:17], v[58:59], s[16:17], v[28:29]
	v_mul_f64 v[28:29], v[62:63], s[50:51]
	v_add_f64 v[6:7], v[30:31], v[6:7]
	v_mul_f64 v[30:31], v[78:79], s[26:27]
	v_add_f64 v[10:11], v[16:17], v[10:11]
	v_fma_f64 v[22:23], v[52:53], s[46:47], v[28:29]
	v_fma_f64 v[105:106], v[64:65], s[30:31], v[30:31]
	v_fma_f64 v[16:17], v[64:65], s[30:31], -v[30:31]
	v_mul_f64 v[30:31], v[60:61], s[46:47]
	v_add_f64 v[4:5], v[105:106], v[4:5]
	v_mul_f64 v[105:106], v[76:77], s[30:31]
	v_add_f64 v[8:9], v[16:17], v[8:9]
	v_fma_f64 v[107:108], v[66:67], s[48:49], v[105:106]
	v_fma_f64 v[16:17], v[66:67], s[26:27], v[105:106]
	v_mul_f64 v[105:106], v[70:71], s[48:49]
	v_add_f64 v[6:7], v[107:108], v[6:7]
	v_mul_f64 v[107:108], v[82:83], s[50:51]
	v_add_f64 v[10:11], v[16:17], v[10:11]
	v_fma_f64 v[109:110], v[74:75], s[46:47], v[107:108]
	v_fma_f64 v[16:17], v[74:75], s[46:47], -v[107:108]
	v_mul_f64 v[107:108], v[68:69], s[30:31]
	v_add_f64 v[4:5], v[109:110], v[4:5]
	v_mul_f64 v[109:110], v[80:81], s[46:47]
	v_add_f64 v[8:9], v[16:17], v[8:9]
	v_mul_f64 v[16:17], v[50:51], s[16:17]
	v_fma_f64 v[20:21], v[72:73], s[50:51], v[109:110]
	v_fma_f64 v[123:124], v[72:73], s[52:53], v[109:110]
	v_mul_f64 v[109:110], v[78:79], s[28:29]
	v_add_f64 v[10:11], v[20:21], v[10:11]
	v_fma_f64 v[20:21], v[44:45], s[24:25], v[16:17]
	v_fma_f64 v[16:17], v[44:45], s[24:25], -v[16:17]
	v_add_f64 v[6:7], v[123:124], v[6:7]
	v_add_f64 v[14:15], v[20:21], v[14:15]
	v_fma_f64 v[20:21], v[46:47], s[44:45], v[24:25]
	v_add_f64 v[12:13], v[16:17], v[12:13]
	v_fma_f64 v[16:17], v[46:47], s[16:17], v[24:25]
	v_fma_f64 v[24:25], v[52:53], s[46:47], -v[28:29]
	v_mul_f64 v[28:29], v[48:49], s[46:47]
	v_add_f64 v[14:15], v[22:23], v[14:15]
	v_add_f64 v[20:21], v[20:21], v[113:114]
	v_fma_f64 v[22:23], v[54:55], s[52:53], v[30:31]
	v_add_f64 v[16:17], v[16:17], v[115:116]
	v_add_f64 v[12:13], v[24:25], v[12:13]
	v_fma_f64 v[24:25], v[54:55], s[50:51], v[30:31]
	v_mul_f64 v[113:114], v[82:83], s[38:39]
	v_mul_f64 v[30:31], v[62:63], s[44:45]
	v_add_f64 v[20:21], v[22:23], v[20:21]
	v_fma_f64 v[22:23], v[56:57], s[30:31], v[105:106]
	v_add_f64 v[16:17], v[24:25], v[16:17]
	v_fma_f64 v[24:25], v[56:57], s[30:31], -v[105:106]
	v_add_f64 v[14:15], v[22:23], v[14:15]
	v_fma_f64 v[22:23], v[58:59], s[26:27], v[107:108]
	v_add_f64 v[12:13], v[24:25], v[12:13]
	v_fma_f64 v[24:25], v[58:59], s[48:49], v[107:108]
	;; [unrolled: 2-line block ×3, first 2 shown]
	v_add_f64 v[16:17], v[24:25], v[16:17]
	v_fma_f64 v[24:25], v[64:65], s[6:7], -v[109:110]
	v_add_f64 v[14:15], v[22:23], v[14:15]
	v_fma_f64 v[22:23], v[66:67], s[36:37], v[111:112]
	v_add_f64 v[12:13], v[24:25], v[12:13]
	v_fma_f64 v[24:25], v[66:67], s[28:29], v[111:112]
	;; [unrolled: 2-line block ×3, first 2 shown]
	v_add_f64 v[16:17], v[24:25], v[16:17]
	v_fma_f64 v[24:25], v[74:75], s[18:19], -v[113:114]
	v_add_f64 v[20:21], v[20:21], v[14:15]
	v_mul_f64 v[14:15], v[80:81], s[18:19]
	v_add_f64 v[12:13], v[24:25], v[12:13]
	v_mul_f64 v[24:25], v[50:51], s[50:51]
	v_fma_f64 v[123:124], v[72:73], s[42:43], v[14:15]
	v_fma_f64 v[14:15], v[72:73], s[38:39], v[14:15]
	v_add_f64 v[22:23], v[123:124], v[22:23]
	v_add_f64 v[14:15], v[14:15], v[16:17]
	v_fma_f64 v[16:17], v[44:45], s[46:47], v[24:25]
	v_fma_f64 v[24:25], v[44:45], s[46:47], -v[24:25]
	v_add_f64 v[16:17], v[16:17], v[18:19]
	v_fma_f64 v[18:19], v[46:47], s[52:53], v[28:29]
	v_add_f64 v[24:25], v[24:25], v[117:118]
	v_fma_f64 v[28:29], v[46:47], s[50:51], v[28:29]
	;; [unrolled: 2-line block ×3, first 2 shown]
	v_fma_f64 v[30:31], v[52:53], s[24:25], -v[30:31]
	v_add_f64 v[28:29], v[28:29], v[40:41]
	v_add_f64 v[16:17], v[42:43], v[16:17]
	v_mul_f64 v[42:43], v[60:61], s[24:25]
	v_add_f64 v[24:25], v[30:31], v[24:25]
	v_fma_f64 v[105:106], v[54:55], s[16:17], v[42:43]
	v_fma_f64 v[30:31], v[54:55], s[44:45], v[42:43]
	v_add_f64 v[18:19], v[105:106], v[18:19]
	v_mul_f64 v[105:106], v[70:71], s[38:39]
	v_add_f64 v[28:29], v[30:31], v[28:29]
	v_fma_f64 v[107:108], v[56:57], s[18:19], v[105:106]
	v_fma_f64 v[30:31], v[56:57], s[18:19], -v[105:106]
	v_add_f64 v[16:17], v[107:108], v[16:17]
	v_mul_f64 v[107:108], v[68:69], s[18:19]
	v_add_f64 v[24:25], v[30:31], v[24:25]
	v_fma_f64 v[109:110], v[58:59], s[42:43], v[107:108]
	v_fma_f64 v[30:31], v[58:59], s[38:39], v[107:108]
	v_add_f64 v[18:19], v[109:110], v[18:19]
	v_mul_f64 v[109:110], v[78:79], s[40:41]
	v_add_f64 v[28:29], v[30:31], v[28:29]
	v_fma_f64 v[111:112], v[64:65], s[12:13], v[109:110]
	v_fma_f64 v[30:31], v[64:65], s[12:13], -v[109:110]
	;; [unrolled: 10-line block ×3, first 2 shown]
	v_add_f64 v[16:17], v[115:116], v[16:17]
	v_mul_f64 v[115:116], v[80:81], s[30:31]
	v_add_f64 v[40:41], v[30:31], v[24:25]
	v_mul_f64 v[30:31], v[48:49], s[30:31]
	v_fma_f64 v[42:43], v[72:73], s[26:27], v[115:116]
	v_fma_f64 v[123:124], v[72:73], s[48:49], v[115:116]
	v_add_f64 v[42:43], v[42:43], v[28:29]
	v_mul_f64 v[28:29], v[50:51], s[48:49]
	v_add_f64 v[18:19], v[123:124], v[18:19]
	v_fma_f64 v[24:25], v[44:45], s[30:31], v[28:29]
	v_fma_f64 v[28:29], v[44:45], s[30:31], -v[28:29]
	v_add_f64 v[24:25], v[24:25], v[26:27]
	v_fma_f64 v[26:27], v[46:47], s[26:27], v[30:31]
	v_add_f64 v[28:29], v[28:29], v[119:120]
	v_fma_f64 v[30:31], v[46:47], s[48:49], v[30:31]
	v_add_f64 v[26:27], v[26:27], v[103:104]
	v_mul_f64 v[103:104], v[62:63], s[38:39]
	v_add_f64 v[30:31], v[30:31], v[121:122]
	v_mul_f64 v[121:122], v[82:83], s[16:17]
	v_fma_f64 v[105:106], v[52:53], s[18:19], v[103:104]
	v_fma_f64 v[103:104], v[52:53], s[18:19], -v[103:104]
	v_add_f64 v[24:25], v[105:106], v[24:25]
	v_mul_f64 v[105:106], v[60:61], s[18:19]
	v_add_f64 v[28:29], v[103:104], v[28:29]
	v_fma_f64 v[107:108], v[54:55], s[42:43], v[105:106]
	v_fma_f64 v[103:104], v[54:55], s[38:39], v[105:106]
	v_add_f64 v[26:27], v[107:108], v[26:27]
	v_mul_f64 v[107:108], v[70:71], s[36:37]
	v_add_f64 v[30:31], v[103:104], v[30:31]
	v_fma_f64 v[109:110], v[56:57], s[6:7], v[107:108]
	v_fma_f64 v[103:104], v[56:57], s[6:7], -v[107:108]
	v_add_f64 v[24:25], v[109:110], v[24:25]
	v_mul_f64 v[109:110], v[68:69], s[6:7]
	v_add_f64 v[28:29], v[103:104], v[28:29]
	v_fma_f64 v[111:112], v[58:59], s[28:29], v[109:110]
	v_fma_f64 v[103:104], v[58:59], s[36:37], v[109:110]
	v_add_f64 v[26:27], v[111:112], v[26:27]
	v_mul_f64 v[111:112], v[78:79], s[52:53]
	v_add_f64 v[30:31], v[103:104], v[30:31]
	;; [unrolled: 10-line block ×3, first 2 shown]
	v_mul_f64 v[82:83], v[82:83], s[28:29]
	v_fma_f64 v[117:118], v[74:75], s[12:13], v[115:116]
	v_fma_f64 v[103:104], v[74:75], s[12:13], -v[115:116]
	v_add_f64 v[24:25], v[117:118], v[24:25]
	v_mul_f64 v[117:118], v[80:81], s[12:13]
	v_add_f64 v[28:29], v[103:104], v[28:29]
	v_mul_f64 v[103:104], v[50:51], s[28:29]
	v_fma_f64 v[105:106], v[72:73], s[34:35], v[117:118]
	v_fma_f64 v[123:124], v[72:73], s[40:41], v[117:118]
	v_add_f64 v[30:31], v[105:106], v[30:31]
	v_fma_f64 v[105:106], v[44:45], s[6:7], v[103:104]
	v_fma_f64 v[103:104], v[44:45], s[6:7], -v[103:104]
	v_add_f64 v[26:27], v[123:124], v[26:27]
	v_mul_f64 v[123:124], v[80:81], s[24:25]
	v_mul_f64 v[80:81], v[80:81], s[6:7]
	v_add_f64 v[34:35], v[105:106], v[34:35]
	v_mul_f64 v[105:106], v[48:49], s[6:7]
	v_add_f64 v[38:39], v[103:104], v[38:39]
	v_fma_f64 v[107:108], v[46:47], s[36:37], v[105:106]
	v_fma_f64 v[103:104], v[46:47], s[28:29], v[105:106]
	;; [unrolled: 1-line block ×3, first 2 shown]
	v_add_f64 v[32:33], v[107:108], v[32:33]
	v_mul_f64 v[107:108], v[62:63], s[40:41]
	v_add_f64 v[36:37], v[103:104], v[36:37]
	v_mul_f64 v[62:63], v[62:63], s[26:27]
	v_fma_f64 v[109:110], v[52:53], s[12:13], v[107:108]
	v_fma_f64 v[103:104], v[52:53], s[12:13], -v[107:108]
	v_add_f64 v[34:35], v[109:110], v[34:35]
	v_mul_f64 v[109:110], v[60:61], s[12:13]
	v_add_f64 v[38:39], v[103:104], v[38:39]
	v_mul_f64 v[60:61], v[60:61], s[30:31]
	v_fma_f64 v[111:112], v[54:55], s[34:35], v[109:110]
	v_fma_f64 v[103:104], v[54:55], s[40:41], v[109:110]
	v_add_f64 v[32:33], v[111:112], v[32:33]
	v_mul_f64 v[111:112], v[70:71], s[52:53]
	v_add_f64 v[36:37], v[103:104], v[36:37]
	v_mul_f64 v[70:71], v[70:71], s[34:35]
	v_fma_f64 v[113:114], v[56:57], s[46:47], v[111:112]
	v_fma_f64 v[103:104], v[56:57], s[46:47], -v[111:112]
	v_add_f64 v[34:35], v[113:114], v[34:35]
	v_mul_f64 v[113:114], v[68:69], s[46:47]
	v_add_f64 v[38:39], v[103:104], v[38:39]
	v_mul_f64 v[68:69], v[68:69], s[12:13]
	v_fma_f64 v[115:116], v[58:59], s[50:51], v[113:114]
	v_fma_f64 v[103:104], v[58:59], s[52:53], v[113:114]
	;; [unrolled: 12-line block ×3, first 2 shown]
	v_add_f64 v[103:104], v[103:104], v[36:37]
	v_fma_f64 v[36:37], v[74:75], s[24:25], -v[121:122]
	v_add_f64 v[119:120], v[119:120], v[32:33]
	v_fma_f64 v[32:33], v[74:75], s[24:25], v[121:122]
	v_add_f64 v[36:37], v[36:37], v[38:39]
	v_add_f64 v[38:39], v[105:106], v[103:104]
	v_mul_f64 v[103:104], v[50:51], s[38:39]
	v_add_f64 v[32:33], v[32:33], v[34:35]
	v_fma_f64 v[34:35], v[72:73], s[44:45], v[123:124]
	v_fma_f64 v[50:51], v[44:45], s[18:19], v[103:104]
	v_fma_f64 v[44:45], v[44:45], s[18:19], -v[103:104]
	v_add_f64 v[34:35], v[34:35], v[119:120]
	v_add_f64 v[50:51], v[50:51], v[90:91]
	v_mul_f64 v[90:91], v[48:49], s[18:19]
	v_add_f64 v[44:45], v[44:45], v[84:85]
	v_fma_f64 v[48:49], v[46:47], s[42:43], v[90:91]
	v_fma_f64 v[46:47], v[46:47], s[38:39], v[90:91]
	v_add_f64 v[48:49], v[48:49], v[88:89]
	v_fma_f64 v[88:89], v[52:53], s[30:31], v[62:63]
	v_add_f64 v[46:47], v[46:47], v[86:87]
	v_fma_f64 v[52:53], v[52:53], s[30:31], -v[62:63]
                                        ; implicit-def: $vgpr62_vgpr63
	v_add_f64 v[50:51], v[88:89], v[50:51]
	v_fma_f64 v[88:89], v[54:55], s[48:49], v[60:61]
	v_fma_f64 v[54:55], v[54:55], s[26:27], v[60:61]
	v_add_f64 v[44:45], v[52:53], v[44:45]
	v_fma_f64 v[52:53], v[56:57], s[12:13], -v[70:71]
	v_add_f64 v[48:49], v[88:89], v[48:49]
	v_fma_f64 v[88:89], v[56:57], s[12:13], v[70:71]
	v_add_f64 v[46:47], v[54:55], v[46:47]
	v_fma_f64 v[54:55], v[58:59], s[34:35], v[68:69]
	v_add_f64 v[44:45], v[52:53], v[44:45]
	v_fma_f64 v[52:53], v[64:65], s[24:25], -v[78:79]
	v_add_f64 v[50:51], v[88:89], v[50:51]
	v_fma_f64 v[88:89], v[58:59], s[40:41], v[68:69]
	v_add_f64 v[46:47], v[54:55], v[46:47]
	v_fma_f64 v[54:55], v[66:67], s[16:17], v[76:77]
	v_add_f64 v[44:45], v[52:53], v[44:45]
	v_fma_f64 v[52:53], v[74:75], s[6:7], -v[82:83]
                                        ; implicit-def: $vgpr58_vgpr59
	v_add_f64 v[48:49], v[88:89], v[48:49]
	v_fma_f64 v[88:89], v[64:65], s[24:25], v[78:79]
	v_add_f64 v[46:47], v[54:55], v[46:47]
	v_fma_f64 v[54:55], v[72:73], s[28:29], v[80:81]
	v_add_f64 v[44:45], v[52:53], v[44:45]
	v_add_f64 v[50:51], v[88:89], v[50:51]
	v_fma_f64 v[88:89], v[66:67], s[44:45], v[76:77]
	v_add_f64 v[46:47], v[54:55], v[46:47]
                                        ; implicit-def: $vgpr54_vgpr55
	v_add_f64 v[88:89], v[88:89], v[48:49]
	v_fma_f64 v[48:49], v[74:75], s[6:7], v[82:83]
	s_movk_i32 s6, 0xd0
	v_mad_u32_u24 v52, v101, s6, v102
	v_add_f64 v[48:49], v[48:49], v[50:51]
	v_fma_f64 v[50:51], v[72:73], s[36:37], v[80:81]
	v_add_f64 v[50:51], v[50:51], v[88:89]
	ds_write_b128 v52, v[0:3]
	ds_write_b128 v52, v[4:7] offset:16
	ds_write_b128 v52, v[20:23] offset:32
	ds_write_b128 v52, v[16:19] offset:48
	ds_write_b128 v52, v[24:27] offset:64
	ds_write_b128 v52, v[32:35] offset:80
	ds_write_b128 v52, v[48:51] offset:96
	ds_write_b128 v52, v[44:47] offset:112
	ds_write_b128 v52, v[36:39] offset:128
	ds_write_b128 v52, v[28:31] offset:144
	ds_write_b128 v52, v[40:43] offset:160
	ds_write_b128 v52, v[12:15] offset:176
	ds_write_b128 v52, v[8:11] offset:192
	s_waitcnt lgkmcnt(0)
	s_barrier
	s_waitcnt lgkmcnt(0)
                                        ; kill: def $vgpr52_vgpr53 killed $sgpr0_sgpr1 killed $exec
	s_and_saveexec_b64 s[6:7], vcc
	s_cbranch_execz .LBB0_16
; %bb.15:
	ds_read_b128 v[0:3], v100
	ds_read_b128 v[4:7], v99 offset:208
	ds_read_b128 v[20:23], v99 offset:416
	;; [unrolled: 1-line block ×15, first 2 shown]
.LBB0_16:
	s_or_b64 exec, exec, s[6:7]
	s_waitcnt lgkmcnt(0)
	s_barrier
	s_and_saveexec_b64 s[6:7], vcc
	s_cbranch_execz .LBB0_18
; %bb.17:
	v_add_u32_e32 v64, -13, v101
	v_cndmask_b32_e32 v64, v64, v101, vcc
	v_mul_i32_i24_e32 v64, 15, v64
	v_mov_b32_e32 v65, 0
	v_lshlrev_b64 v[64:65], 4, v[64:65]
	v_mov_b32_e32 v66, s23
	v_add_co_u32_e32 v113, vcc, s22, v64
	v_addc_co_u32_e32 v114, vcc, v66, v65, vcc
	global_load_dwordx4 v[64:67], v[113:114], off offset:16
	global_load_dwordx4 v[68:71], v[113:114], off offset:144
	global_load_dwordx4 v[72:75], v[113:114], off offset:80
	global_load_dwordx4 v[76:79], v[113:114], off offset:208
	global_load_dwordx4 v[80:83], v[113:114], off offset:32
	global_load_dwordx4 v[84:87], v[113:114], off offset:160
	global_load_dwordx4 v[88:91], v[113:114], off offset:112
	global_load_dwordx4 v[101:104], v[113:114], off offset:48
	global_load_dwordx4 v[105:108], v[113:114], off offset:176
	global_load_dwordx4 v[109:112], v[113:114], off offset:96
	s_mov_b32 s12, 0x667f3bcd
	s_mov_b32 s13, 0x3fe6a09e
	;; [unrolled: 1-line block ×12, first 2 shown]
	s_waitcnt vmcnt(9)
	v_mul_f64 v[115:116], v[20:21], v[66:67]
	v_mul_f64 v[66:67], v[22:23], v[66:67]
	s_waitcnt vmcnt(8)
	v_mul_f64 v[117:118], v[40:41], v[70:71]
	v_mul_f64 v[70:71], v[42:43], v[70:71]
	v_fma_f64 v[115:116], v[22:23], v[64:65], -v[115:116]
	v_fma_f64 v[119:120], v[20:21], v[64:65], v[66:67]
	s_waitcnt vmcnt(7)
	v_mul_f64 v[64:65], v[50:51], v[74:75]
	v_mul_f64 v[66:67], v[48:49], v[74:75]
	global_load_dwordx4 v[20:23], v[113:114], off offset:224
	v_fma_f64 v[74:75], v[42:43], v[68:69], -v[117:118]
	v_fma_f64 v[68:69], v[40:41], v[68:69], v[70:71]
	global_load_dwordx4 v[40:43], v[113:114], off
	s_waitcnt vmcnt(8)
	v_mul_f64 v[70:71], v[62:63], v[78:79]
	v_mul_f64 v[78:79], v[60:61], v[78:79]
	v_fma_f64 v[117:118], v[48:49], v[72:73], v[64:65]
	v_fma_f64 v[72:73], v[50:51], v[72:73], -v[66:67]
	global_load_dwordx4 v[48:51], v[113:114], off offset:128
	global_load_dwordx4 v[64:67], v[113:114], off offset:64
	v_fma_f64 v[70:71], v[60:61], v[76:77], v[70:71]
	v_fma_f64 v[76:77], v[62:63], v[76:77], -v[78:79]
	global_load_dwordx4 v[60:63], v[113:114], off offset:192
	s_waitcnt vmcnt(10)
	v_mul_f64 v[78:79], v[16:17], v[82:83]
	v_mul_f64 v[82:83], v[18:19], v[82:83]
	s_waitcnt vmcnt(9)
	v_mul_f64 v[113:114], v[12:13], v[86:87]
	v_fma_f64 v[18:19], v[18:19], v[80:81], -v[78:79]
	v_fma_f64 v[16:17], v[16:17], v[80:81], v[82:83]
	s_waitcnt vmcnt(5)
	v_mul_f64 v[82:83], v[46:47], v[111:112]
	v_mul_f64 v[78:79], v[14:15], v[86:87]
	;; [unrolled: 1-line block ×4, first 2 shown]
	v_fma_f64 v[14:15], v[14:15], v[84:85], -v[113:114]
	v_fma_f64 v[44:45], v[44:45], v[109:110], v[82:83]
	v_fma_f64 v[12:13], v[12:13], v[84:85], v[78:79]
	v_fma_f64 v[46:47], v[46:47], v[109:110], -v[86:87]
	v_mul_f64 v[78:79], v[26:27], v[103:104]
	v_mul_f64 v[84:85], v[10:11], v[107:108]
	v_add_f64 v[14:15], v[18:19], -v[14:15]
	v_add_f64 v[12:13], v[16:17], -v[12:13]
	v_fma_f64 v[18:19], v[18:19], 2.0, -v[14:15]
	v_fma_f64 v[16:17], v[16:17], 2.0, -v[12:13]
	s_waitcnt vmcnt(4)
	v_mul_f64 v[111:112], v[58:59], v[22:23]
	v_mul_f64 v[22:23], v[56:57], v[22:23]
	s_waitcnt vmcnt(3)
	v_mul_f64 v[82:83], v[4:5], v[42:43]
	v_mul_f64 v[42:43], v[6:7], v[42:43]
	s_waitcnt vmcnt(2)
	v_mul_f64 v[86:87], v[28:29], v[50:51]
	s_waitcnt vmcnt(1)
	v_mul_f64 v[109:110], v[34:35], v[66:67]
	v_fma_f64 v[56:57], v[56:57], v[20:21], v[111:112]
	v_fma_f64 v[20:21], v[58:59], v[20:21], -v[22:23]
	v_mul_f64 v[58:59], v[32:33], v[66:67]
	v_fma_f64 v[6:7], v[6:7], v[40:41], -v[82:83]
	v_fma_f64 v[4:5], v[4:5], v[40:41], v[42:43]
	v_mul_f64 v[40:41], v[24:25], v[103:104]
	v_mul_f64 v[42:43], v[8:9], v[107:108]
	;; [unrolled: 1-line block ×3, first 2 shown]
	s_waitcnt vmcnt(0)
	v_mul_f64 v[22:23], v[54:55], v[62:63]
	v_mul_f64 v[50:51], v[30:31], v[50:51]
	;; [unrolled: 1-line block ×3, first 2 shown]
	v_fma_f64 v[38:39], v[38:39], v[88:89], -v[80:81]
	v_fma_f64 v[24:25], v[24:25], v[101:102], v[78:79]
	v_fma_f64 v[26:27], v[26:27], v[101:102], -v[40:41]
	v_fma_f64 v[10:11], v[10:11], v[105:106], -v[42:43]
	v_fma_f64 v[36:37], v[36:37], v[88:89], v[66:67]
	v_fma_f64 v[8:9], v[8:9], v[105:106], v[84:85]
	v_fma_f64 v[30:31], v[30:31], v[48:49], -v[86:87]
	v_fma_f64 v[32:33], v[32:33], v[64:65], v[109:110]
	v_fma_f64 v[22:23], v[52:53], v[60:61], v[22:23]
	;; [unrolled: 1-line block ×3, first 2 shown]
	v_fma_f64 v[34:35], v[34:35], v[64:65], -v[58:59]
	v_fma_f64 v[48:49], v[54:55], v[60:61], -v[62:63]
	v_add_f64 v[50:51], v[119:120], -v[68:69]
	v_add_f64 v[52:53], v[72:73], -v[76:77]
	;; [unrolled: 1-line block ×14, first 2 shown]
	v_add_f64 v[64:65], v[50:51], v[52:53]
	v_add_f64 v[70:71], v[36:37], v[10:11]
	v_add_f64 v[56:57], v[40:41], -v[42:43]
	v_add_f64 v[58:59], v[38:39], -v[8:9]
	;; [unrolled: 1-line block ×4, first 2 shown]
	v_add_f64 v[66:67], v[12:13], v[20:21]
	v_add_f64 v[68:69], v[28:29], v[48:49]
	v_fma_f64 v[78:79], v[2:3], 2.0, -v[38:39]
	v_fma_f64 v[2:3], v[26:27], 2.0, -v[10:11]
	;; [unrolled: 1-line block ×9, first 2 shown]
	v_fma_f64 v[32:33], v[64:65], s[12:13], v[70:71]
	v_fma_f64 v[6:7], v[66:67], s[12:13], v[68:69]
	v_fma_f64 v[20:21], v[46:47], 2.0, -v[20:21]
	v_add_f64 v[46:47], v[78:79], -v[2:3]
	v_add_f64 v[54:55], v[26:27], -v[10:11]
	;; [unrolled: 1-line block ×4, first 2 shown]
	v_fma_f64 v[38:39], v[38:39], 2.0, -v[58:59]
	v_fma_f64 v[80:81], v[56:57], s[12:13], v[32:33]
	v_add_f64 v[32:33], v[4:5], -v[22:23]
	v_fma_f64 v[22:23], v[40:41], 2.0, -v[56:57]
	v_fma_f64 v[44:45], v[30:31], 2.0, -v[60:61]
	v_fma_f64 v[14:15], v[14:15], 2.0, -v[62:63]
	v_fma_f64 v[74:75], v[56:57], s[12:13], v[58:59]
	v_fma_f64 v[76:77], v[62:63], s[12:13], v[60:61]
	;; [unrolled: 1-line block ×3, first 2 shown]
	v_add_f64 v[56:57], v[46:47], -v[54:55]
	v_add_f64 v[82:83], v[34:35], -v[10:11]
	;; [unrolled: 1-line block ×3, first 2 shown]
	v_fma_f64 v[40:41], v[115:116], 2.0, -v[40:41]
	v_fma_f64 v[52:53], v[72:73], 2.0, -v[52:53]
	;; [unrolled: 1-line block ×4, first 2 shown]
	v_fma_f64 v[24:25], v[22:23], s[16:17], v[38:39]
	v_fma_f64 v[50:51], v[50:51], 2.0, -v[64:65]
	v_fma_f64 v[62:63], v[14:15], s[16:17], v[44:45]
	v_fma_f64 v[12:13], v[12:13], 2.0, -v[66:67]
	v_fma_f64 v[28:29], v[28:29], 2.0, -v[68:69]
	;; [unrolled: 1-line block ×3, first 2 shown]
	v_fma_f64 v[74:75], v[64:65], s[16:17], v[74:75]
	v_fma_f64 v[76:77], v[66:67], s[16:17], v[76:77]
	;; [unrolled: 1-line block ×3, first 2 shown]
	v_add_f64 v[52:53], v[40:41], -v[52:53]
	v_add_f64 v[66:67], v[32:33], v[20:21]
	v_add_f64 v[72:73], v[0:1], -v[8:9]
	v_fma_f64 v[24:25], v[50:51], s[16:17], v[24:25]
	v_fma_f64 v[62:63], v[12:13], s[16:17], v[62:63]
	;; [unrolled: 1-line block ×4, first 2 shown]
	v_fma_f64 v[50:51], v[78:79], 2.0, -v[46:47]
	v_fma_f64 v[40:41], v[40:41], 2.0, -v[52:53]
	;; [unrolled: 1-line block ×4, first 2 shown]
	v_fma_f64 v[10:11], v[66:67], s[16:17], v[64:65]
	v_add_f64 v[64:65], v[72:73], v[52:53]
	v_fma_f64 v[52:53], v[62:63], s[24:25], v[24:25]
	v_fma_f64 v[78:79], v[14:15], s[12:13], v[8:9]
	;; [unrolled: 1-line block ×4, first 2 shown]
	v_add_f64 v[40:41], v[50:51], -v[40:41]
	v_add_f64 v[86:87], v[4:5], -v[16:17]
	v_fma_f64 v[88:89], v[0:1], 2.0, -v[72:73]
	v_fma_f64 v[0:1], v[26:27], 2.0, -v[54:55]
	;; [unrolled: 1-line block ×4, first 2 shown]
	v_fma_f64 v[12:13], v[66:67], s[12:13], v[64:65]
	v_fma_f64 v[14:15], v[78:79], s[26:27], v[52:53]
	;; [unrolled: 1-line block ×5, first 2 shown]
	v_add_f64 v[18:19], v[40:41], -v[86:87]
	v_add_f64 v[20:21], v[88:89], -v[0:1]
	;; [unrolled: 1-line block ×3, first 2 shown]
	v_fma_f64 v[8:9], v[82:83], s[12:13], v[12:13]
	v_fma_f64 v[26:27], v[24:25], 2.0, -v[14:15]
	v_fma_f64 v[12:13], v[62:63], s[18:19], v[16:17]
	v_fma_f64 v[24:25], v[38:39], 2.0, -v[24:25]
	v_fma_f64 v[62:63], v[44:45], 2.0, -v[62:63]
	;; [unrolled: 1-line block ×14, first 2 shown]
	v_fma_f64 v[0:1], v[76:77], s[24:25], v[30:31]
	v_fma_f64 v[30:31], v[40:41], 2.0, -v[18:19]
	v_add_f64 v[16:17], v[20:21], v[52:53]
	v_fma_f64 v[44:45], v[62:63], s[26:27], v[24:25]
	v_fma_f64 v[70:71], v[50:51], 2.0, -v[40:41]
	v_fma_f64 v[40:41], v[42:43], 2.0, -v[52:53]
	;; [unrolled: 1-line block ×4, first 2 shown]
	v_fma_f64 v[60:61], v[58:59], s[22:23], v[54:55]
	v_fma_f64 v[36:37], v[74:75], s[16:17], v[56:57]
	;; [unrolled: 1-line block ×6, first 2 shown]
	v_add_f64 v[46:47], v[70:71], -v[40:41]
	v_add_f64 v[44:45], v[52:53], -v[4:5]
	v_fma_f64 v[34:35], v[34:35], s[26:27], v[60:61]
	v_fma_f64 v[38:39], v[32:33], s[16:17], v[36:37]
	;; [unrolled: 1-line block ×5, first 2 shown]
	v_fma_f64 v[58:59], v[24:25], 2.0, -v[42:43]
	v_fma_f64 v[62:63], v[70:71], 2.0, -v[46:47]
	;; [unrolled: 1-line block ×12, first 2 shown]
	ds_write_b128 v100, v[60:63]
	ds_write_b128 v99, v[56:59] offset:208
	ds_write_b128 v99, v[52:55] offset:416
	;; [unrolled: 1-line block ×15, first 2 shown]
.LBB0_18:
	s_or_b64 exec, exec, s[6:7]
	s_waitcnt lgkmcnt(0)
	s_barrier
	s_and_saveexec_b64 s[6:7], s[0:1]
	s_cbranch_execz .LBB0_20
; %bb.19:
	v_mad_u64_u32 v[4:5], s[6:7], s10, v97, 0
	s_mul_i32 s0, s3, s20
	s_mul_hi_u32 s1, s2, s20
	s_add_i32 s1, s1, s0
	s_mul_i32 s0, s2, s20
	v_mad_u64_u32 v[6:7], s[2:3], s8, v92, 0
	v_mov_b32_e32 v0, v5
	v_mad_u64_u32 v[0:1], s[2:3], s11, v97, v[0:1]
	v_mov_b32_e32 v1, v7
	v_mad_u64_u32 v[1:2], s[2:3], s9, v92, v[1:2]
	s_lshl_b64 s[0:1], s[0:1], 4
	s_add_u32 s2, s14, s0
	v_mov_b32_e32 v5, v0
	s_addc_u32 s3, s15, s1
	s_lshl_b64 s[0:1], s[4:5], 4
	v_mul_u32_u24_e32 v0, 0xd00, v97
	s_add_u32 s0, s2, s0
	v_lshlrev_b64 v[4:5], 4, v[4:5]
	v_add3_u32 v12, 0, v0, v98
	s_addc_u32 s1, s3, s1
	v_mov_b32_e32 v7, v1
	ds_read_b128 v[0:3], v12
	v_mov_b32_e32 v8, s1
	v_add_co_u32_e32 v13, vcc, s0, v4
	v_addc_co_u32_e32 v14, vcc, v8, v5, vcc
	v_lshlrev_b64 v[4:5], 4, v[6:7]
	v_mad_u64_u32 v[8:9], s[0:1], s8, v96, 0
	v_add_co_u32_e32 v10, vcc, v13, v4
	v_addc_co_u32_e32 v11, vcc, v14, v5, vcc
	ds_read_b128 v[4:7], v12 offset:256
	s_waitcnt lgkmcnt(1)
	global_store_dwordx4 v[10:11], v[0:3], off
	v_mad_u64_u32 v[10:11], s[0:1], s8, v95, 0
	v_mov_b32_e32 v0, v9
	v_mad_u64_u32 v[0:1], s[0:1], s9, v96, v[0:1]
	v_mov_b32_e32 v2, v11
	;; [unrolled: 2-line block ×3, first 2 shown]
	v_lshlrev_b64 v[0:1], 4, v[8:9]
	v_mov_b32_e32 v11, v2
	v_add_co_u32_e32 v0, vcc, v13, v0
	v_addc_co_u32_e32 v1, vcc, v14, v1, vcc
	s_waitcnt lgkmcnt(0)
	global_store_dwordx4 v[0:1], v[4:7], off
	ds_read_b128 v[0:3], v12 offset:512
	v_lshlrev_b64 v[4:5], 4, v[10:11]
	v_mad_u64_u32 v[8:9], s[0:1], s8, v94, 0
	v_add_co_u32_e32 v10, vcc, v13, v4
	v_addc_co_u32_e32 v11, vcc, v14, v5, vcc
	ds_read_b128 v[4:7], v12 offset:768
	s_waitcnt lgkmcnt(1)
	global_store_dwordx4 v[10:11], v[0:3], off
	v_mad_u64_u32 v[10:11], s[0:1], s8, v93, 0
	v_mov_b32_e32 v0, v9
	v_mad_u64_u32 v[0:1], s[0:1], s9, v94, v[0:1]
	v_mov_b32_e32 v2, v11
	;; [unrolled: 2-line block ×3, first 2 shown]
	v_lshlrev_b64 v[0:1], 4, v[8:9]
	v_mov_b32_e32 v11, v2
	v_add_co_u32_e32 v0, vcc, v13, v0
	v_addc_co_u32_e32 v1, vcc, v14, v1, vcc
	s_waitcnt lgkmcnt(0)
	global_store_dwordx4 v[0:1], v[4:7], off
	ds_read_b128 v[0:3], v12 offset:1024
	v_add_u32_e32 v15, 0x50, v92
	v_lshlrev_b64 v[4:5], 4, v[10:11]
	v_mad_u64_u32 v[8:9], s[0:1], s8, v15, 0
	v_add_co_u32_e32 v10, vcc, v13, v4
	v_addc_co_u32_e32 v11, vcc, v14, v5, vcc
	ds_read_b128 v[4:7], v12 offset:1280
	s_waitcnt lgkmcnt(1)
	global_store_dwordx4 v[10:11], v[0:3], off
	s_nop 0
	v_mov_b32_e32 v0, v9
	v_or_b32_e32 v3, 0x60, v92
	v_mad_u64_u32 v[0:1], s[0:1], s9, v15, v[0:1]
	v_mad_u64_u32 v[10:11], s[0:1], s8, v3, 0
	v_mov_b32_e32 v9, v0
	v_lshlrev_b64 v[0:1], 4, v[8:9]
	v_mov_b32_e32 v2, v11
	v_mad_u64_u32 v[2:3], s[0:1], s9, v3, v[2:3]
	v_add_co_u32_e32 v0, vcc, v13, v0
	v_addc_co_u32_e32 v1, vcc, v14, v1, vcc
	s_waitcnt lgkmcnt(0)
	global_store_dwordx4 v[0:1], v[4:7], off
	v_mov_b32_e32 v11, v2
	ds_read_b128 v[0:3], v12 offset:1536
	v_add_u32_e32 v15, 0x70, v92
	v_lshlrev_b64 v[4:5], 4, v[10:11]
	v_mad_u64_u32 v[8:9], s[0:1], s8, v15, 0
	v_add_co_u32_e32 v10, vcc, v13, v4
	v_addc_co_u32_e32 v11, vcc, v14, v5, vcc
	ds_read_b128 v[4:7], v12 offset:1792
	s_waitcnt lgkmcnt(1)
	global_store_dwordx4 v[10:11], v[0:3], off
	s_nop 0
	v_mov_b32_e32 v0, v9
	v_or_b32_e32 v3, 0x80, v92
	v_mad_u64_u32 v[0:1], s[0:1], s9, v15, v[0:1]
	v_mad_u64_u32 v[10:11], s[0:1], s8, v3, 0
	v_mov_b32_e32 v9, v0
	v_lshlrev_b64 v[0:1], 4, v[8:9]
	v_mov_b32_e32 v2, v11
	v_mad_u64_u32 v[2:3], s[0:1], s9, v3, v[2:3]
	v_add_co_u32_e32 v0, vcc, v13, v0
	v_addc_co_u32_e32 v1, vcc, v14, v1, vcc
	s_waitcnt lgkmcnt(0)
	global_store_dwordx4 v[0:1], v[4:7], off
	v_mov_b32_e32 v11, v2
	;; [unrolled: 23-line block ×4, first 2 shown]
	ds_read_b128 v[0:3], v12 offset:3072
	v_lshlrev_b64 v[4:5], 4, v[10:11]
	v_add_co_u32_e32 v4, vcc, v13, v4
	v_addc_co_u32_e32 v5, vcc, v14, v5, vcc
	s_waitcnt lgkmcnt(0)
	global_store_dwordx4 v[4:5], v[0:3], off
.LBB0_20:
	s_endpgm
	.section	.rodata,"a",@progbits
	.p2align	6, 0x0
	.amdhsa_kernel fft_rtc_back_len208_factors_13_16_wgs_144_tpt_16_dp_op_CI_CI_sbcc
		.amdhsa_group_segment_fixed_size 0
		.amdhsa_private_segment_fixed_size 0
		.amdhsa_kernarg_size 112
		.amdhsa_user_sgpr_count 6
		.amdhsa_user_sgpr_private_segment_buffer 1
		.amdhsa_user_sgpr_dispatch_ptr 0
		.amdhsa_user_sgpr_queue_ptr 0
		.amdhsa_user_sgpr_kernarg_segment_ptr 1
		.amdhsa_user_sgpr_dispatch_id 0
		.amdhsa_user_sgpr_flat_scratch_init 0
		.amdhsa_user_sgpr_private_segment_size 0
		.amdhsa_uses_dynamic_stack 0
		.amdhsa_system_sgpr_private_segment_wavefront_offset 0
		.amdhsa_system_sgpr_workgroup_id_x 1
		.amdhsa_system_sgpr_workgroup_id_y 0
		.amdhsa_system_sgpr_workgroup_id_z 0
		.amdhsa_system_sgpr_workgroup_info 0
		.amdhsa_system_vgpr_workitem_id 0
		.amdhsa_next_free_vgpr 125
		.amdhsa_next_free_sgpr 55
		.amdhsa_reserve_vcc 1
		.amdhsa_reserve_flat_scratch 0
		.amdhsa_float_round_mode_32 0
		.amdhsa_float_round_mode_16_64 0
		.amdhsa_float_denorm_mode_32 3
		.amdhsa_float_denorm_mode_16_64 3
		.amdhsa_dx10_clamp 1
		.amdhsa_ieee_mode 1
		.amdhsa_fp16_overflow 0
		.amdhsa_exception_fp_ieee_invalid_op 0
		.amdhsa_exception_fp_denorm_src 0
		.amdhsa_exception_fp_ieee_div_zero 0
		.amdhsa_exception_fp_ieee_overflow 0
		.amdhsa_exception_fp_ieee_underflow 0
		.amdhsa_exception_fp_ieee_inexact 0
		.amdhsa_exception_int_div_zero 0
	.end_amdhsa_kernel
	.text
.Lfunc_end0:
	.size	fft_rtc_back_len208_factors_13_16_wgs_144_tpt_16_dp_op_CI_CI_sbcc, .Lfunc_end0-fft_rtc_back_len208_factors_13_16_wgs_144_tpt_16_dp_op_CI_CI_sbcc
                                        ; -- End function
	.section	.AMDGPU.csdata,"",@progbits
; Kernel info:
; codeLenInByte = 9992
; NumSgprs: 59
; NumVgprs: 125
; ScratchSize: 0
; MemoryBound: 0
; FloatMode: 240
; IeeeMode: 1
; LDSByteSize: 0 bytes/workgroup (compile time only)
; SGPRBlocks: 7
; VGPRBlocks: 31
; NumSGPRsForWavesPerEU: 59
; NumVGPRsForWavesPerEU: 125
; Occupancy: 2
; WaveLimiterHint : 1
; COMPUTE_PGM_RSRC2:SCRATCH_EN: 0
; COMPUTE_PGM_RSRC2:USER_SGPR: 6
; COMPUTE_PGM_RSRC2:TRAP_HANDLER: 0
; COMPUTE_PGM_RSRC2:TGID_X_EN: 1
; COMPUTE_PGM_RSRC2:TGID_Y_EN: 0
; COMPUTE_PGM_RSRC2:TGID_Z_EN: 0
; COMPUTE_PGM_RSRC2:TIDIG_COMP_CNT: 0
	.type	__hip_cuid_da7883f69b990e4b,@object ; @__hip_cuid_da7883f69b990e4b
	.section	.bss,"aw",@nobits
	.globl	__hip_cuid_da7883f69b990e4b
__hip_cuid_da7883f69b990e4b:
	.byte	0                               ; 0x0
	.size	__hip_cuid_da7883f69b990e4b, 1

	.ident	"AMD clang version 19.0.0git (https://github.com/RadeonOpenCompute/llvm-project roc-6.4.0 25133 c7fe45cf4b819c5991fe208aaa96edf142730f1d)"
	.section	".note.GNU-stack","",@progbits
	.addrsig
	.addrsig_sym __hip_cuid_da7883f69b990e4b
	.amdgpu_metadata
---
amdhsa.kernels:
  - .args:
      - .actual_access:  read_only
        .address_space:  global
        .offset:         0
        .size:           8
        .value_kind:     global_buffer
      - .address_space:  global
        .offset:         8
        .size:           8
        .value_kind:     global_buffer
      - .offset:         16
        .size:           8
        .value_kind:     by_value
      - .actual_access:  read_only
        .address_space:  global
        .offset:         24
        .size:           8
        .value_kind:     global_buffer
      - .actual_access:  read_only
        .address_space:  global
        .offset:         32
        .size:           8
        .value_kind:     global_buffer
      - .actual_access:  read_only
        .address_space:  global
        .offset:         40
        .size:           8
        .value_kind:     global_buffer
      - .offset:         48
        .size:           8
        .value_kind:     by_value
      - .actual_access:  read_only
        .address_space:  global
        .offset:         56
        .size:           8
        .value_kind:     global_buffer
      - .actual_access:  read_only
        .address_space:  global
        .offset:         64
        .size:           8
        .value_kind:     global_buffer
      - .offset:         72
        .size:           4
        .value_kind:     by_value
      - .actual_access:  read_only
        .address_space:  global
        .offset:         80
        .size:           8
        .value_kind:     global_buffer
      - .actual_access:  read_only
        .address_space:  global
        .offset:         88
        .size:           8
        .value_kind:     global_buffer
      - .actual_access:  read_only
        .address_space:  global
        .offset:         96
        .size:           8
        .value_kind:     global_buffer
      - .actual_access:  write_only
        .address_space:  global
        .offset:         104
        .size:           8
        .value_kind:     global_buffer
    .group_segment_fixed_size: 0
    .kernarg_segment_align: 8
    .kernarg_segment_size: 112
    .language:       OpenCL C
    .language_version:
      - 2
      - 0
    .max_flat_workgroup_size: 144
    .name:           fft_rtc_back_len208_factors_13_16_wgs_144_tpt_16_dp_op_CI_CI_sbcc
    .private_segment_fixed_size: 0
    .sgpr_count:     59
    .sgpr_spill_count: 0
    .symbol:         fft_rtc_back_len208_factors_13_16_wgs_144_tpt_16_dp_op_CI_CI_sbcc.kd
    .uniform_work_group_size: 1
    .uses_dynamic_stack: false
    .vgpr_count:     125
    .vgpr_spill_count: 0
    .wavefront_size: 64
amdhsa.target:   amdgcn-amd-amdhsa--gfx906
amdhsa.version:
  - 1
  - 2
...

	.end_amdgpu_metadata
